;; amdgpu-corpus repo=zjin-lcf/HeCBench kind=compiled arch=gfx1250 opt=O3
	.amdgcn_target "amdgcn-amd-amdhsa--gfx1250"
	.amdhsa_code_object_version 6
	.text
	.protected	_Z15gaussian_kernelPKhPhii ; -- Begin function _Z15gaussian_kernelPKhPhii
	.globl	_Z15gaussian_kernelPKhPhii
	.p2align	8
	.type	_Z15gaussian_kernelPKhPhii,@function
_Z15gaussian_kernelPKhPhii:             ; @_Z15gaussian_kernelPKhPhii
; %bb.0:
	s_clause 0x1
	s_load_b32 s3, s[0:1], 0x24
	s_load_b32 s2, s[0:1], 0x14
	s_bfe_u32 s5, ttmp6, 0x4000c
	s_bfe_u32 s6, ttmp6, 0x40010
	v_bfe_u32 v7, v0, 10, 10
	v_and_b32_e32 v8, 0x3ff, v0
	s_add_co_i32 s5, s5, 1
	s_add_co_i32 s6, s6, 1
	s_and_b32 s4, ttmp6, 15
	s_bfe_u32 s7, ttmp6, 0x40004
	s_mul_i32 s5, ttmp9, s5
	s_mul_i32 s6, ttmp7, s6
	s_getreg_b32 s8, hwreg(HW_REG_IB_STS2, 6, 4)
	s_add_co_i32 s4, s4, s5
	s_add_co_i32 s7, s7, s6
	v_dual_add_nc_u32 v4, 1, v7 :: v_dual_add_nc_u32 v10, 1, v8
	s_wait_kmcnt 0x0
	s_lshr_b32 s5, s3, 16
	s_and_b32 s6, s3, 0xffff
	s_cmp_eq_u32 s8, 0
	s_cselect_b32 s3, ttmp9, s4
	s_cselect_b32 s4, ttmp7, s7
	v_mad_u32 v0, s3, s6, v10
	v_mad_u32 v1, s4, s5, v4
	s_load_b64 s[4:5], s[0:1], 0x0
	s_add_co_i32 s10, s6, 2
	s_mov_b32 s3, exec_lo
	v_mul_u32_u24_e32 v6, s10, v4
	s_delay_alu instid0(VALU_DEP_1) | instskip(NEXT) | instid1(VALU_DEP_3)
	v_lshl_add_u32 v9, v6, 2, 0
	v_mad_u32 v0, v1, s2, v0
	s_delay_alu instid0(VALU_DEP_2) | instskip(SKIP_3) | instid1(VALU_DEP_1)
	v_lshl_add_u32 v11, v10, 2, v9
	s_wait_kmcnt 0x0
	global_load_u8 v5, v0, s[4:5]
	v_ashrrev_i32_e32 v1, 31, v0
	v_add_nc_u64_e32 v[2:3], s[4:5], v[0:1]
	s_wait_loadcnt 0x0
	ds_store_b32 v11, v5
	v_cmpx_ne_u32_e32 0, v7
	s_xor_b32 s7, exec_lo, s3
	s_cbranch_execz .LBB0_9
; %bb.1:
	s_mov_b32 s8, exec_lo
	v_cmpx_eq_u32_e64 s6, v4
	s_cbranch_execz .LBB0_8
; %bb.2:
	s_ashr_i32 s3, s2, 31
	s_mov_b32 s9, exec_lo
	v_add_nc_u64_e32 v[4:5], s[2:3], v[2:3]
	s_add_co_i32 s3, s6, 1
	s_delay_alu instid0(SALU_CYCLE_1) | instskip(NEXT) | instid1(SALU_CYCLE_1)
	s_mul_i32 s3, s3, s10
	s_lshl_b32 s3, s3, 2
	s_delay_alu instid0(SALU_CYCLE_1)
	s_add_co_i32 s3, s3, 0
	global_load_u8 v11, v[4:5], off
	v_lshl_add_u32 v12, v10, 2, s3
	s_wait_loadcnt 0x0
	ds_store_b32 v12, v11
	v_cmpx_ne_u32_e32 0, v8
	s_xor_b32 s9, exec_lo, s9
	s_cbranch_execz .LBB0_6
; %bb.3:
	s_mov_b32 s11, exec_lo
	v_cmpx_eq_u32_e64 s6, v10
	s_cbranch_execz .LBB0_5
; %bb.4:
	global_load_u8 v4, v[4:5], off offset:1
	s_lshl_b32 s12, s6, 2
	s_delay_alu instid0(SALU_CYCLE_1)
	s_add_co_i32 s12, s3, s12
	s_wait_xcnt 0x0
	v_mov_b32_e32 v5, s12
	s_wait_loadcnt 0x0
	ds_store_b32 v5, v4 offset:4
.LBB0_5:
	s_or_b32 exec_lo, exec_lo, s11
                                        ; implicit-def: $vgpr4_vgpr5
.LBB0_6:
	s_and_not1_saveexec_b32 s9, s9
	s_cbranch_execz .LBB0_8
; %bb.7:
	global_load_u8 v4, v[4:5], off offset:-1
	s_wait_xcnt 0x0
	v_mov_b32_e32 v5, s3
	s_wait_loadcnt 0x0
	ds_store_b32 v5, v4
.LBB0_8:
	s_or_b32 exec_lo, exec_lo, s8
.LBB0_9:
	s_and_not1_saveexec_b32 s3, s7
	s_cbranch_execz .LBB0_17
; %bb.10:
	v_subrev_nc_u32_e32 v4, s2, v0
	v_lshl_add_u32 v12, v10, 2, 0
	s_mov_b32 s2, exec_lo
	global_load_u8 v11, v4, s[4:5]
	v_ashrrev_i32_e32 v5, 31, v4
	s_wait_xcnt 0x0
	s_delay_alu instid0(VALU_DEP_1)
	v_add_nc_u64_e32 v[4:5], s[4:5], v[4:5]
	s_wait_loadcnt 0x0
	ds_store_b32 v12, v11
	v_cmpx_ne_u32_e32 0, v8
	s_xor_b32 s2, exec_lo, s2
	s_cbranch_execz .LBB0_14
; %bb.11:
	s_mov_b32 s4, exec_lo
	v_cmpx_eq_u32_e64 s6, v10
	s_cbranch_execz .LBB0_13
; %bb.12:
	global_load_u8 v4, v[4:5], off offset:1
	s_lshl_b32 s5, s6, 2
	s_delay_alu instid0(SALU_CYCLE_1)
	s_add_co_i32 s5, s5, 0
	s_wait_xcnt 0x0
	v_mov_b32_e32 v5, s5
	s_wait_loadcnt 0x0
	ds_store_b32 v5, v4 offset:4
.LBB0_13:
	s_or_b32 exec_lo, exec_lo, s4
                                        ; implicit-def: $vgpr4_vgpr5
.LBB0_14:
	s_and_not1_saveexec_b32 s2, s2
	s_cbranch_execz .LBB0_16
; %bb.15:
	global_load_u8 v4, v[4:5], off offset:-1
	s_wait_xcnt 0x0
	v_mov_b32_e32 v5, 0
	s_wait_loadcnt 0x0
	ds_store_b32 v5, v4
.LBB0_16:
	s_or_b32 exec_lo, exec_lo, s2
.LBB0_17:
	s_delay_alu instid0(SALU_CYCLE_1) | instskip(NEXT) | instid1(SALU_CYCLE_1)
	s_or_b32 exec_lo, exec_lo, s3
	s_mov_b32 s2, exec_lo
	v_cmpx_ne_u32_e32 0, v8
	s_xor_b32 s2, exec_lo, s2
	s_cbranch_execz .LBB0_21
; %bb.18:
	s_mov_b32 s3, exec_lo
	v_cmpx_eq_u32_e64 s6, v10
	s_cbranch_execz .LBB0_20
; %bb.19:
	global_load_u8 v2, v[2:3], off offset:1
	s_wait_xcnt 0x0
	v_lshl_add_u32 v3, s6, 2, v9
	s_wait_loadcnt 0x0
	ds_store_b32 v3, v2 offset:4
.LBB0_20:
	s_or_b32 exec_lo, exec_lo, s3
                                        ; implicit-def: $vgpr2_vgpr3
                                        ; implicit-def: $vgpr9
.LBB0_21:
	s_or_saveexec_b32 s2, s2
	s_load_b64 s[8:9], s[0:1], 0x8
	s_xor_b32 exec_lo, exec_lo, s2
	s_cbranch_execz .LBB0_23
; %bb.22:
	global_load_u8 v2, v[2:3], off offset:-1
	s_wait_loadcnt 0x0
	ds_store_b32 v9, v2
.LBB0_23:
	s_or_b32 exec_lo, exec_lo, s2
	v_lshl_add_u32 v4, v8, 2, 0
	v_mul_u32_u24_e32 v2, s10, v7
	s_wait_dscnt 0x0
	s_barrier_signal -1
	s_barrier_wait -1
	s_delay_alu instid0(VALU_DEP_1)
	v_lshl_add_u32 v5, v2, 2, v4
	s_get_pc_i64 s[12:13]
	s_add_nc_u64 s[12:13], s[12:13], c_gaus@rel64+4
	v_lshl_add_u32 v4, v6, 2, v4
	s_wait_xcnt 0x0
	s_load_b256 s[0:7], s[12:13], 0x0
	s_wait_kmcnt 0x0
	v_add_nc_u64_e32 v[0:1], s[8:9], v[0:1]
	ds_load_2addr_b32 v[2:3], v5 offset1:1
	ds_load_b32 v7, v5 offset:8
	s_wait_dscnt 0x1
	v_cvt_f32_i32_e32 v2, v2
	v_cvt_f32_i32_e32 v3, v3
	s_delay_alu instid0(VALU_DEP_2) | instskip(SKIP_1) | instid1(VALU_DEP_1)
	v_mul_f32_e32 v2, s0, v2
	s_load_b32 s0, s[12:13], 0x20
	v_cvt_i32_f32_e32 v2, v2
	s_delay_alu instid0(VALU_DEP_1) | instskip(NEXT) | instid1(VALU_DEP_1)
	v_cvt_f32_i32_e32 v8, v2
	v_fmac_f32_e32 v8, s1, v3
	ds_load_2addr_b32 v[2:3], v4 offset1:1
	s_wait_dscnt 0x1
	v_cvt_f32_i32_e32 v7, v7
	v_cvt_i32_f32_e32 v6, v8
	s_delay_alu instid0(VALU_DEP_1) | instskip(NEXT) | instid1(VALU_DEP_1)
	v_cvt_f32_i32_e32 v6, v6
	v_fmac_f32_e32 v6, s2, v7
	v_lshl_add_u32 v7, s10, 3, v5
	ds_load_b32 v8, v4 offset:8
	ds_load_2addr_b32 v[4:5], v7 offset1:1
	ds_load_b32 v7, v7 offset:8
	v_cvt_i32_f32_e32 v6, v6
	s_wait_dscnt 0x3
	v_cvt_f32_i32_e32 v2, v2
	v_cvt_f32_i32_e32 v3, v3
	s_delay_alu instid0(VALU_DEP_3) | instskip(NEXT) | instid1(VALU_DEP_1)
	v_cvt_f32_i32_e32 v6, v6
	v_fmac_f32_e32 v6, s3, v2
	s_delay_alu instid0(VALU_DEP_1) | instskip(NEXT) | instid1(VALU_DEP_1)
	v_cvt_i32_f32_e32 v2, v6
	v_cvt_f32_i32_e32 v2, v2
	s_delay_alu instid0(VALU_DEP_1) | instskip(SKIP_2) | instid1(VALU_DEP_2)
	v_fmac_f32_e32 v2, s4, v3
	s_wait_dscnt 0x2
	v_cvt_f32_i32_e32 v3, v8
	v_cvt_i32_f32_e32 v2, v2
	s_delay_alu instid0(VALU_DEP_1) | instskip(NEXT) | instid1(VALU_DEP_1)
	v_cvt_f32_i32_e32 v2, v2
	v_fmac_f32_e32 v2, s5, v3
	s_wait_dscnt 0x1
	v_cvt_f32_i32_e32 v3, v4
	s_delay_alu instid0(VALU_DEP_2) | instskip(NEXT) | instid1(VALU_DEP_1)
	v_cvt_i32_f32_e32 v2, v2
	v_cvt_f32_i32_e32 v2, v2
	s_delay_alu instid0(VALU_DEP_1) | instskip(SKIP_1) | instid1(VALU_DEP_2)
	v_fmac_f32_e32 v2, s6, v3
	v_cvt_f32_i32_e32 v3, v5
	v_cvt_i32_f32_e32 v2, v2
	s_delay_alu instid0(VALU_DEP_1) | instskip(NEXT) | instid1(VALU_DEP_1)
	v_cvt_f32_i32_e32 v2, v2
	v_fmac_f32_e32 v2, s7, v3
	s_wait_dscnt 0x0
	v_cvt_f32_i32_e32 v3, v7
	s_delay_alu instid0(VALU_DEP_2) | instskip(NEXT) | instid1(VALU_DEP_1)
	v_cvt_i32_f32_e32 v2, v2
	v_cvt_f32_i32_e32 v2, v2
	s_wait_kmcnt 0x0
	s_delay_alu instid0(VALU_DEP_1) | instskip(NEXT) | instid1(VALU_DEP_1)
	v_fmac_f32_e32 v2, s0, v3
	v_cvt_i32_f32_e32 v2, v2
	s_delay_alu instid0(VALU_DEP_1)
	v_med3_i32 v2, v2, 0, 0xff
	global_store_b8 v[0:1], v2, off
	s_endpgm
	.section	.rodata,"a",@progbits
	.p2align	6, 0x0
	.amdhsa_kernel _Z15gaussian_kernelPKhPhii
		.amdhsa_group_segment_fixed_size 0
		.amdhsa_private_segment_fixed_size 0
		.amdhsa_kernarg_size 280
		.amdhsa_user_sgpr_count 2
		.amdhsa_user_sgpr_dispatch_ptr 0
		.amdhsa_user_sgpr_queue_ptr 0
		.amdhsa_user_sgpr_kernarg_segment_ptr 1
		.amdhsa_user_sgpr_dispatch_id 0
		.amdhsa_user_sgpr_kernarg_preload_length 0
		.amdhsa_user_sgpr_kernarg_preload_offset 0
		.amdhsa_user_sgpr_private_segment_size 0
		.amdhsa_wavefront_size32 1
		.amdhsa_uses_dynamic_stack 0
		.amdhsa_enable_private_segment 0
		.amdhsa_system_sgpr_workgroup_id_x 1
		.amdhsa_system_sgpr_workgroup_id_y 1
		.amdhsa_system_sgpr_workgroup_id_z 0
		.amdhsa_system_sgpr_workgroup_info 0
		.amdhsa_system_vgpr_workitem_id 1
		.amdhsa_next_free_vgpr 13
		.amdhsa_next_free_sgpr 14
		.amdhsa_named_barrier_count 0
		.amdhsa_reserve_vcc 0
		.amdhsa_float_round_mode_32 0
		.amdhsa_float_round_mode_16_64 0
		.amdhsa_float_denorm_mode_32 3
		.amdhsa_float_denorm_mode_16_64 3
		.amdhsa_fp16_overflow 0
		.amdhsa_memory_ordered 1
		.amdhsa_forward_progress 1
		.amdhsa_inst_pref_size 10
		.amdhsa_round_robin_scheduling 0
		.amdhsa_exception_fp_ieee_invalid_op 0
		.amdhsa_exception_fp_denorm_src 0
		.amdhsa_exception_fp_ieee_div_zero 0
		.amdhsa_exception_fp_ieee_overflow 0
		.amdhsa_exception_fp_ieee_underflow 0
		.amdhsa_exception_fp_ieee_inexact 0
		.amdhsa_exception_int_div_zero 0
	.end_amdhsa_kernel
	.text
.Lfunc_end0:
	.size	_Z15gaussian_kernelPKhPhii, .Lfunc_end0-_Z15gaussian_kernelPKhPhii
                                        ; -- End function
	.set _Z15gaussian_kernelPKhPhii.num_vgpr, 13
	.set _Z15gaussian_kernelPKhPhii.num_agpr, 0
	.set _Z15gaussian_kernelPKhPhii.numbered_sgpr, 14
	.set _Z15gaussian_kernelPKhPhii.num_named_barrier, 0
	.set _Z15gaussian_kernelPKhPhii.private_seg_size, 0
	.set _Z15gaussian_kernelPKhPhii.uses_vcc, 0
	.set _Z15gaussian_kernelPKhPhii.uses_flat_scratch, 0
	.set _Z15gaussian_kernelPKhPhii.has_dyn_sized_stack, 0
	.set _Z15gaussian_kernelPKhPhii.has_recursion, 0
	.set _Z15gaussian_kernelPKhPhii.has_indirect_call, 0
	.section	.AMDGPU.csdata,"",@progbits
; Kernel info:
; codeLenInByte = 1156
; TotalNumSgprs: 14
; NumVgprs: 13
; ScratchSize: 0
; MemoryBound: 0
; FloatMode: 240
; IeeeMode: 1
; LDSByteSize: 0 bytes/workgroup (compile time only)
; SGPRBlocks: 0
; VGPRBlocks: 0
; NumSGPRsForWavesPerEU: 14
; NumVGPRsForWavesPerEU: 13
; NamedBarCnt: 0
; Occupancy: 16
; WaveLimiterHint : 0
; COMPUTE_PGM_RSRC2:SCRATCH_EN: 0
; COMPUTE_PGM_RSRC2:USER_SGPR: 2
; COMPUTE_PGM_RSRC2:TRAP_HANDLER: 0
; COMPUTE_PGM_RSRC2:TGID_X_EN: 1
; COMPUTE_PGM_RSRC2:TGID_Y_EN: 1
; COMPUTE_PGM_RSRC2:TGID_Z_EN: 0
; COMPUTE_PGM_RSRC2:TIDIG_COMP_CNT: 1
	.text
	.protected	_Z12sobel_kernelPKhPhS1_ii ; -- Begin function _Z12sobel_kernelPKhPhS1_ii
	.globl	_Z12sobel_kernelPKhPhS1_ii
	.p2align	8
	.type	_Z12sobel_kernelPKhPhS1_ii,@function
_Z12sobel_kernelPKhPhS1_ii:             ; @_Z12sobel_kernelPKhPhS1_ii
; %bb.0:
	s_clause 0x1
	s_load_b32 s3, s[0:1], 0x2c
	s_load_b32 s2, s[0:1], 0x1c
	s_bfe_u32 s5, ttmp6, 0x4000c
	s_bfe_u32 s6, ttmp6, 0x40010
	v_bfe_u32 v7, v0, 10, 10
	v_and_b32_e32 v8, 0x3ff, v0
	s_add_co_i32 s5, s5, 1
	s_add_co_i32 s6, s6, 1
	s_and_b32 s4, ttmp6, 15
	s_bfe_u32 s7, ttmp6, 0x40004
	s_mul_i32 s5, ttmp9, s5
	s_mul_i32 s6, ttmp7, s6
	s_getreg_b32 s8, hwreg(HW_REG_IB_STS2, 6, 4)
	s_add_co_i32 s4, s4, s5
	s_add_co_i32 s7, s7, s6
	v_dual_add_nc_u32 v4, 1, v7 :: v_dual_add_nc_u32 v10, 1, v8
	s_wait_kmcnt 0x0
	s_lshr_b32 s5, s3, 16
	s_and_b32 s6, s3, 0xffff
	s_cmp_eq_u32 s8, 0
	s_cselect_b32 s3, ttmp9, s4
	s_cselect_b32 s4, ttmp7, s7
	v_mad_u32 v0, s3, s6, v10
	v_mad_u32 v1, s4, s5, v4
	s_load_b64 s[4:5], s[0:1], 0x0
	s_add_co_i32 s22, s6, 2
	s_mov_b32 s3, exec_lo
	v_mul_u32_u24_e32 v6, s22, v4
	s_delay_alu instid0(VALU_DEP_1) | instskip(NEXT) | instid1(VALU_DEP_3)
	v_lshl_add_u32 v9, v6, 2, 0
	v_mad_u32 v0, v1, s2, v0
	s_delay_alu instid0(VALU_DEP_2) | instskip(SKIP_3) | instid1(VALU_DEP_1)
	v_lshl_add_u32 v11, v10, 2, v9
	s_wait_kmcnt 0x0
	global_load_u8 v5, v0, s[4:5]
	v_ashrrev_i32_e32 v1, 31, v0
	v_add_nc_u64_e32 v[2:3], s[4:5], v[0:1]
	s_wait_loadcnt 0x0
	ds_store_b32 v11, v5
	v_cmpx_ne_u32_e32 0, v7
	s_xor_b32 s7, exec_lo, s3
	s_cbranch_execz .LBB1_9
; %bb.1:
	s_mov_b32 s8, exec_lo
	v_cmpx_eq_u32_e64 s6, v4
	s_cbranch_execz .LBB1_8
; %bb.2:
	s_ashr_i32 s3, s2, 31
	s_mov_b32 s9, exec_lo
	v_add_nc_u64_e32 v[4:5], s[2:3], v[2:3]
	s_add_co_i32 s3, s6, 1
	s_delay_alu instid0(SALU_CYCLE_1) | instskip(NEXT) | instid1(SALU_CYCLE_1)
	s_mul_i32 s3, s3, s22
	s_lshl_b32 s3, s3, 2
	s_delay_alu instid0(SALU_CYCLE_1)
	s_add_co_i32 s3, s3, 0
	global_load_u8 v11, v[4:5], off
	v_lshl_add_u32 v12, v10, 2, s3
	s_wait_loadcnt 0x0
	ds_store_b32 v12, v11
	v_cmpx_ne_u32_e32 0, v8
	s_xor_b32 s9, exec_lo, s9
	s_cbranch_execz .LBB1_6
; %bb.3:
	s_mov_b32 s10, exec_lo
	v_cmpx_eq_u32_e64 s6, v10
	s_cbranch_execz .LBB1_5
; %bb.4:
	global_load_u8 v4, v[4:5], off offset:1
	s_lshl_b32 s11, s6, 2
	s_delay_alu instid0(SALU_CYCLE_1)
	s_add_co_i32 s11, s3, s11
	s_wait_xcnt 0x0
	v_mov_b32_e32 v5, s11
	s_wait_loadcnt 0x0
	ds_store_b32 v5, v4 offset:4
.LBB1_5:
	s_or_b32 exec_lo, exec_lo, s10
                                        ; implicit-def: $vgpr4_vgpr5
.LBB1_6:
	s_and_not1_saveexec_b32 s9, s9
	s_cbranch_execz .LBB1_8
; %bb.7:
	global_load_u8 v4, v[4:5], off offset:-1
	s_wait_xcnt 0x0
	v_mov_b32_e32 v5, s3
	s_wait_loadcnt 0x0
	ds_store_b32 v5, v4
.LBB1_8:
	s_or_b32 exec_lo, exec_lo, s8
.LBB1_9:
	s_and_not1_saveexec_b32 s3, s7
	s_cbranch_execz .LBB1_17
; %bb.10:
	v_subrev_nc_u32_e32 v4, s2, v0
	v_lshl_add_u32 v12, v10, 2, 0
	s_mov_b32 s2, exec_lo
	global_load_u8 v11, v4, s[4:5]
	v_ashrrev_i32_e32 v5, 31, v4
	s_wait_xcnt 0x0
	s_delay_alu instid0(VALU_DEP_1)
	v_add_nc_u64_e32 v[4:5], s[4:5], v[4:5]
	s_wait_loadcnt 0x0
	ds_store_b32 v12, v11
	v_cmpx_ne_u32_e32 0, v8
	s_xor_b32 s2, exec_lo, s2
	s_cbranch_execz .LBB1_14
; %bb.11:
	s_mov_b32 s4, exec_lo
	v_cmpx_eq_u32_e64 s6, v10
	s_cbranch_execz .LBB1_13
; %bb.12:
	global_load_u8 v4, v[4:5], off offset:1
	s_lshl_b32 s5, s6, 2
	s_delay_alu instid0(SALU_CYCLE_1)
	s_add_co_i32 s5, s5, 0
	s_wait_xcnt 0x0
	v_mov_b32_e32 v5, s5
	s_wait_loadcnt 0x0
	ds_store_b32 v5, v4 offset:4
.LBB1_13:
	s_or_b32 exec_lo, exec_lo, s4
                                        ; implicit-def: $vgpr4_vgpr5
.LBB1_14:
	s_and_not1_saveexec_b32 s2, s2
	s_cbranch_execz .LBB1_16
; %bb.15:
	global_load_u8 v4, v[4:5], off offset:-1
	s_wait_xcnt 0x0
	v_mov_b32_e32 v5, 0
	s_wait_loadcnt 0x0
	ds_store_b32 v5, v4
.LBB1_16:
	s_or_b32 exec_lo, exec_lo, s2
.LBB1_17:
	s_delay_alu instid0(SALU_CYCLE_1) | instskip(NEXT) | instid1(SALU_CYCLE_1)
	s_or_b32 exec_lo, exec_lo, s3
	s_mov_b32 s2, exec_lo
	v_cmpx_ne_u32_e32 0, v8
	s_xor_b32 s2, exec_lo, s2
	s_cbranch_execz .LBB1_21
; %bb.18:
	s_mov_b32 s3, exec_lo
	v_cmpx_eq_u32_e64 s6, v10
	s_cbranch_execz .LBB1_20
; %bb.19:
	global_load_u8 v2, v[2:3], off offset:1
	s_wait_xcnt 0x0
	v_lshl_add_u32 v3, s6, 2, v9
	s_wait_loadcnt 0x0
	ds_store_b32 v3, v2 offset:4
.LBB1_20:
	s_or_b32 exec_lo, exec_lo, s3
                                        ; implicit-def: $vgpr2_vgpr3
                                        ; implicit-def: $vgpr9
.LBB1_21:
	s_or_saveexec_b32 s2, s2
	s_load_b64 s[20:21], s[0:1], 0x8
	s_xor_b32 exec_lo, exec_lo, s2
	s_cbranch_execz .LBB1_23
; %bb.22:
	global_load_u8 v2, v[2:3], off offset:-1
	s_wait_loadcnt 0x0
	ds_store_b32 v9, v2
.LBB1_23:
	s_or_b32 exec_lo, exec_lo, s2
	v_lshl_add_u32 v4, v8, 2, 0
	v_mul_u32_u24_e32 v2, s22, v7
	s_get_pc_i64 s[2:3]
	s_add_nc_u64 s[2:3], s[2:3], c_soby@rel64+4
	s_get_pc_i64 s[24:25]
	s_add_nc_u64 s[24:25], s[24:25], c_sobx@rel64+4
	s_wait_dscnt 0x0
	s_barrier_signal -1
	v_lshl_add_u32 v7, v2, 2, v4
	s_barrier_wait -1
	s_load_b256 s[4:11], s[2:3], 0x0
	s_load_b256 s[12:19], s[24:25], 0x0
	ds_load_2addr_b32 v[2:3], v7 offset1:1
	v_lshl_add_u32 v6, v6, 2, v4
	ds_load_b32 v8, v7 offset:8
	ds_load_2addr_b32 v[4:5], v6 offset1:1
	ds_load_b32 v10, v6 offset:8
	v_lshl_add_u32 v6, s22, 3, v7
	s_wait_xcnt 0x0
	s_get_pc_i64 s[2:3]
	s_add_nc_u64 s[2:3], s[2:3], c_sobx@rel64+36
	s_get_pc_i64 s[24:25]
	s_add_nc_u64 s[24:25], s[24:25], c_soby@rel64+36
	s_load_b32 s2, s[2:3], 0x0
	ds_load_b32 v15, v6 offset:8
	s_wait_xcnt 0x0
	s_load_b32 s3, s[24:25], 0x0
	s_wait_dscnt 0x4
	s_wait_kmcnt 0x0
	v_mul_lo_u32 v7, s4, v2
	v_mul_lo_u32 v9, s12, v2
	;; [unrolled: 1-line block ×4, first 2 shown]
	ds_load_2addr_b32 v[2:3], v6 offset1:1
	s_wait_dscnt 0x4
	v_mul_lo_u32 v13, s6, v8
	v_mul_lo_u32 v14, s14, v8
	s_wait_dscnt 0x3
	v_mul_lo_u32 v16, s15, v4
	v_mul_lo_u32 v17, s7, v4
	v_cvt_f32_i32_e32 v7, v7
	v_cvt_f32_i32_e32 v6, v9
	;; [unrolled: 1-line block ×4, first 2 shown]
	v_mul_lo_u32 v11, s16, v5
	v_mul_lo_u32 v12, s8, v5
	v_cvt_f32_i32_e32 v5, v13
	v_cvt_f32_i32_e32 v4, v14
	v_pk_add_f32 v[6:7], v[6:7], v[8:9]
	s_wait_dscnt 0x2
	v_mul_lo_u32 v13, s17, v10
	v_mul_lo_u32 v10, s9, v10
	v_cvt_f32_i32_e32 v9, v17
	v_cvt_f32_i32_e32 v8, v16
	v_pk_add_f32 v[4:5], v[6:7], v[4:5]
	s_wait_dscnt 0x0
	v_mul_lo_u32 v14, s18, v2
	v_mul_lo_u32 v16, s10, v2
	v_cvt_f32_i32_e32 v7, v12
	v_cvt_f32_i32_e32 v6, v11
	v_pk_add_f32 v[4:5], v[4:5], v[8:9]
	v_mul_lo_u32 v8, s19, v3
	v_mul_lo_u32 v9, s11, v3
	v_cvt_f32_i32_e32 v3, v10
	v_cvt_f32_i32_e32 v2, v13
	v_pk_add_f32 v[4:5], v[4:5], v[6:7]
	v_mul_lo_u32 v10, s2, v15
	v_mul_lo_u32 v11, s3, v15
	v_cvt_f32_i32_e32 v7, v16
	v_cvt_f32_i32_e32 v6, v14
	v_pk_add_f32 v[2:3], v[4:5], v[2:3]
	s_mov_b32 s2, 0x3b2d2a58
	v_cvt_f32_i32_e32 v4, v8
	v_cvt_f32_i32_e32 v5, v9
	s_delay_alu instid0(VALU_DEP_3) | instskip(SKIP_2) | instid1(VALU_DEP_3)
	v_pk_add_f32 v[2:3], v[2:3], v[6:7]
	v_cvt_f32_i32_e32 v6, v10
	v_cvt_f32_i32_e32 v7, v11
	v_pk_add_f32 v[2:3], v[2:3], v[4:5]
	s_delay_alu instid0(VALU_DEP_1) | instskip(NEXT) | instid1(VALU_DEP_1)
	v_pk_add_f32 v[2:3], v[2:3], v[6:7]
	v_max_num_f32_e64 v6, |v2|, |v3|
	v_min_num_f32_e64 v8, |v2|, |v3|
	v_cmp_gt_f32_e64 vcc_lo, |v3|, |v2|
	v_cmp_class_f32_e64 s3, v3, 0x204
	v_cmp_class_f32_e64 s4, v2, 0x204
	v_frexp_mant_f32_e32 v7, v6
	v_cvt_f64_f32_e32 v[4:5], v6
	v_frexp_exp_i32_f32_e32 v9, v6
	v_frexp_exp_i32_f32_e32 v10, v8
	v_frexp_mant_f32_e32 v8, v8
	v_rcp_f32_e32 v7, v7
	v_nop
	s_delay_alu instid0(TRANS32_DEP_1) | instskip(NEXT) | instid1(VALU_DEP_1)
	v_dual_sub_nc_u32 v9, v10, v9 :: v_dual_mul_f32 v7, v8, v7
	v_ldexp_f32 v7, v7, v9
	s_delay_alu instid0(VALU_DEP_1) | instskip(NEXT) | instid1(VALU_DEP_1)
	v_mul_f32_e32 v8, v7, v7
	v_fmaak_f32 v9, s2, v8, 0xbc7a590c
	v_cmp_eq_f32_e64 s2, 0, v3
	s_delay_alu instid0(VALU_DEP_2) | instskip(SKIP_1) | instid1(VALU_DEP_2)
	v_fmaak_f32 v9, v8, v9, 0x3d29fb3f
	v_frexp_exp_i32_f64_e32 v4, v[4:5]
	v_fmaak_f32 v5, v8, v9, 0xbd97d4d7
	s_delay_alu instid0(VALU_DEP_1) | instskip(NEXT) | instid1(VALU_DEP_1)
	v_fmaak_f32 v5, v8, v5, 0x3dd931b2
	v_fmaak_f32 v5, v8, v5, 0xbe1160e6
	s_delay_alu instid0(VALU_DEP_1) | instskip(NEXT) | instid1(VALU_DEP_1)
	v_fmaak_f32 v5, v8, v5, 0x3e4cb8bf
	v_fmaak_f32 v5, v8, v5, 0xbeaaaa62
	s_delay_alu instid0(VALU_DEP_1) | instskip(NEXT) | instid1(VALU_DEP_1)
	v_mul_f32_e32 v5, v8, v5
	v_fmac_f32_e32 v7, v7, v5
	s_delay_alu instid0(VALU_DEP_1) | instskip(NEXT) | instid1(VALU_DEP_1)
	v_sub_f32_e32 v8, 0x3fc90fdb, v7
	v_cndmask_b32_e32 v7, v7, v8, vcc_lo
	v_sub_nc_u32_e32 v5, 0, v4
	v_cmp_gt_i32_e32 vcc_lo, 0, v2
	s_delay_alu instid0(VALU_DEP_3) | instskip(NEXT) | instid1(VALU_DEP_3)
	v_sub_f32_e32 v10, 0x40490fdb, v7
	v_ldexp_f32 v9, |v3|, v5
	v_ldexp_f32 v5, |v2|, v5
	s_delay_alu instid0(VALU_DEP_2) | instskip(NEXT) | instid1(VALU_DEP_1)
	v_dual_mul_f32 v8, v9, v9 :: v_dual_mov_b32 v9, 0x4016cbe4
	v_fmac_f32_e32 v8, v5, v5
	v_cndmask_b32_e64 v5, 0, 0x40490fdb, vcc_lo
	v_cmp_gt_f32_e32 vcc_lo, 0, v2
	s_delay_alu instid0(VALU_DEP_3) | instskip(SKIP_1) | instid1(VALU_DEP_1)
	v_sqrt_f32_e32 v8, v8
	v_cndmask_b32_e32 v7, v7, v10, vcc_lo
	v_cndmask_b32_e64 v5, v7, v5, s2
	v_cndmask_b32_e32 v7, 0x3f490fdb, v9, vcc_lo
	s_and_b32 vcc_lo, s4, s3
	s_delay_alu instid0(TRANS32_DEP_1) | instskip(SKIP_1) | instid1(VALU_DEP_2)
	v_ldexp_f32 v4, v8, v4
	s_mov_b32 s2, exec_lo
	v_cndmask_b32_e32 v5, v5, v7, vcc_lo
	v_cmp_neq_f32_e32 vcc_lo, 0x7f800000, v6
	s_delay_alu instid0(VALU_DEP_3) | instskip(SKIP_1) | instid1(VALU_DEP_2)
	v_cndmask_b32_e32 v4, 0x7f800000, v4, vcc_lo
	v_cmp_o_f32_e32 vcc_lo, v2, v3
	v_cvt_i32_f32_e32 v6, v4
	v_cndmask_b32_e32 v2, 0x7fc00000, v5, vcc_lo
	v_add_nc_u64_e32 v[4:5], s[20:21], v[0:1]
	s_delay_alu instid0(VALU_DEP_2) | instskip(NEXT) | instid1(VALU_DEP_4)
	v_bfi_b32 v2, 0x7fffffff, v2, v3
	v_med3_i32 v3, v6, 0, 0xff
	global_store_b8 v[4:5], v3, off
	s_wait_xcnt 0x0
	v_cmpx_gt_f32_e32 0, v2
	s_cbranch_execz .LBB1_33
; %bb.24:
	v_add_f32_e32 v2, 0x40c90fdb, v2
                                        ; implicit-def: $vgpr3
	s_delay_alu instid0(VALU_DEP_1) | instskip(SKIP_1) | instid1(SALU_CYCLE_1)
	v_cmp_nlt_f32_e64 s3, 0x40c90fdb, |v2|
	s_and_saveexec_b32 s4, s3
	s_xor_b32 s3, exec_lo, s4
; %bb.25:
	v_bfi_b32 v3, 0x7fffffff, 0, v2
	v_cmp_eq_f32_e64 vcc_lo, 0x40c90fdb, |v2|
	s_delay_alu instid0(VALU_DEP_2)
	v_cndmask_b32_e32 v3, v2, v3, vcc_lo
; %bb.26:
	s_and_not1_saveexec_b32 s3, s3
	s_cbranch_execz .LBB1_32
; %bb.27:
	v_and_b32_e32 v3, 0x7fffffff, v2
	s_mov_b32 s4, exec_lo
	s_delay_alu instid0(VALU_DEP_1) | instskip(SKIP_1) | instid1(VALU_DEP_1)
	v_cvt_f64_f32_e32 v[4:5], v3
	v_frexp_mant_f32_e64 v3, |v2|
	v_ldexp_f32 v3, v3, 12
	s_delay_alu instid0(VALU_DEP_3) | instskip(NEXT) | instid1(VALU_DEP_1)
	v_frexp_exp_i32_f64_e32 v5, v[4:5]
	v_add_nc_u32_e32 v4, -3, v5
	s_delay_alu instid0(VALU_DEP_1)
	v_cmpx_lt_i32_e32 12, v4
	s_cbranch_execz .LBB1_31
; %bb.28:
	v_add_nc_u32_e32 v4, 9, v5
	s_mov_b32 s5, 0
.LBB1_29:                               ; =>This Inner Loop Header: Depth=1
	s_delay_alu instid0(VALU_DEP_1) | instskip(NEXT) | instid1(VALU_DEP_1)
	v_mul_f32_e32 v5, 0x3f22f983, v3
	v_rndne_f32_e32 v5, v5
	s_delay_alu instid0(VALU_DEP_1) | instskip(SKIP_1) | instid1(VALU_DEP_1)
	v_fmac_f32_e32 v3, 0xbfc90fdb, v5
	v_mov_b32_e32 v5, v4
	v_add_nc_u32_e32 v4, -12, v5
	s_delay_alu instid0(VALU_DEP_3) | instskip(SKIP_1) | instid1(VALU_DEP_2)
	v_add_f32_e32 v6, 0x3fc90fdb, v3
	v_cmp_gt_f32_e32 vcc_lo, 0, v3
	v_cndmask_b32_e32 v3, v3, v6, vcc_lo
	s_delay_alu instid0(VALU_DEP_4) | instskip(NEXT) | instid1(VALU_DEP_2)
	v_cmp_gt_u32_e32 vcc_lo, 25, v4
	v_ldexp_f32 v3, v3, 12
	s_or_b32 s5, vcc_lo, s5
	s_delay_alu instid0(SALU_CYCLE_1)
	s_and_not1_b32 exec_lo, exec_lo, s5
	s_cbranch_execnz .LBB1_29
; %bb.30:
	s_or_b32 exec_lo, exec_lo, s5
	v_subrev_nc_u32_e32 v4, 24, v5
.LBB1_31:
	s_or_b32 exec_lo, exec_lo, s4
	s_delay_alu instid0(VALU_DEP_1) | instskip(NEXT) | instid1(VALU_DEP_1)
	v_add_nc_u32_e32 v4, -11, v4
	v_ldexp_f32 v3, v3, v4
	s_delay_alu instid0(VALU_DEP_1) | instskip(NEXT) | instid1(VALU_DEP_1)
	v_mul_f32_e32 v4, 0x3f22f983, v3
	v_rndne_f32_e32 v4, v4
	s_delay_alu instid0(VALU_DEP_1) | instskip(NEXT) | instid1(VALU_DEP_1)
	v_fmamk_f32 v3, v4, 0xbfc90fdb, v3
	v_add_f32_e32 v4, 0x3fc90fdb, v3
	v_cmp_gt_f32_e32 vcc_lo, 0, v3
	s_delay_alu instid0(VALU_DEP_2) | instskip(NEXT) | instid1(VALU_DEP_1)
	v_cndmask_b32_e32 v3, v3, v4, vcc_lo
	v_ldexp_f32 v3, v3, 2
	s_delay_alu instid0(VALU_DEP_1)
	v_bitop3_b32 v3, v2, v3, 0x80000000 bitop3:0x6c
.LBB1_32:
	s_or_b32 exec_lo, exec_lo, s3
	v_cmp_class_f32_e64 vcc_lo, v2, 0x1f8
	s_delay_alu instid0(VALU_DEP_2)
	v_cndmask_b32_e32 v2, 0x7fc00000, v3, vcc_lo
.LBB1_33:
	s_or_b32 exec_lo, exec_lo, s2
	s_load_b64 s[0:1], s[0:1], 0x10
	s_wait_kmcnt 0x0
	v_add_nc_u64_e32 v[0:1], s[0:1], v[0:1]
	s_mov_b32 s0, exec_lo
	v_cmpx_ge_f32_e32 0x3ec90fdb, v2
	s_xor_b32 s0, exec_lo, s0
	s_cbranch_execz .LBB1_35
; %bb.34:
	v_mov_b32_e32 v2, 0
	global_store_b8 v[0:1], v2, off
                                        ; implicit-def: $vgpr2
                                        ; implicit-def: $vgpr0_vgpr1
.LBB1_35:
	s_wait_xcnt 0x0
	s_and_not1_saveexec_b32 s0, s0
	s_cbranch_execz .LBB1_58
; %bb.36:
	s_mov_b32 s0, exec_lo
	v_cmpx_ge_f32_e32 0x3f96cbe4, v2
	s_xor_b32 s0, exec_lo, s0
	s_cbranch_execz .LBB1_38
; %bb.37:
	v_mov_b32_e32 v2, 45
	global_store_b8 v[0:1], v2, off
                                        ; implicit-def: $vgpr2
                                        ; implicit-def: $vgpr0_vgpr1
.LBB1_38:
	s_wait_xcnt 0x0
	s_and_not1_saveexec_b32 s0, s0
	s_cbranch_execz .LBB1_58
; %bb.39:
	s_mov_b32 s0, exec_lo
	v_cmpx_ge_f32_e32 0x3ffb53d2, v2
	s_xor_b32 s0, exec_lo, s0
	s_cbranch_execz .LBB1_41
; %bb.40:
	v_mov_b32_e32 v2, 0x5a
	global_store_b8 v[0:1], v2, off
                                        ; implicit-def: $vgpr2
                                        ; implicit-def: $vgpr0_vgpr1
.LBB1_41:
	s_wait_xcnt 0x0
	s_and_not1_saveexec_b32 s0, s0
	s_cbranch_execz .LBB1_58
; %bb.42:
	s_mov_b32 s0, exec_lo
	v_cmpx_ge_f32_e32 0x402fede0, v2
	s_xor_b32 s0, exec_lo, s0
	s_cbranch_execz .LBB1_44
; %bb.43:
	v_mov_b32_e32 v2, 0x87
	global_store_b8 v[0:1], v2, off
                                        ; implicit-def: $vgpr2
                                        ; implicit-def: $vgpr0_vgpr1
.LBB1_44:
	s_wait_xcnt 0x0
	s_and_not1_saveexec_b32 s0, s0
	s_cbranch_execz .LBB1_58
; %bb.45:
	s_mov_b32 s0, exec_lo
	v_cmpx_ge_f32_e32 0x406231d6, v2
	s_xor_b32 s0, exec_lo, s0
	s_cbranch_execz .LBB1_47
; %bb.46:
	v_mov_b32_e32 v2, 0
	global_store_b8 v[0:1], v2, off
                                        ; implicit-def: $vgpr2
                                        ; implicit-def: $vgpr0_vgpr1
.LBB1_47:
	s_wait_xcnt 0x0
	s_and_not1_saveexec_b32 s0, s0
	s_cbranch_execz .LBB1_58
; %bb.48:
	s_mov_b32 s0, exec_lo
	v_cmpx_ge_f32_e32 0x408a3ae7, v2
	s_xor_b32 s0, exec_lo, s0
	s_cbranch_execz .LBB1_50
; %bb.49:
	v_mov_b32_e32 v2, 45
	global_store_b8 v[0:1], v2, off
                                        ; implicit-def: $vgpr2
                                        ; implicit-def: $vgpr0_vgpr1
.LBB1_50:
	s_wait_xcnt 0x0
	s_and_not1_saveexec_b32 s0, s0
	s_cbranch_execz .LBB1_58
; %bb.51:
	s_mov_b32 s0, exec_lo
	v_cmpx_ge_f32_e32 0x40a35ce2, v2
	s_xor_b32 s0, exec_lo, s0
	s_cbranch_execz .LBB1_53
; %bb.52:
	v_mov_b32_e32 v2, 0x5a
	global_store_b8 v[0:1], v2, off
                                        ; implicit-def: $vgpr0_vgpr1
                                        ; implicit-def: $vgpr2
.LBB1_53:
	s_wait_xcnt 0x0
	s_and_not1_saveexec_b32 s0, s0
	s_cbranch_execz .LBB1_58
; %bb.54:
	s_mov_b32 s0, exec_lo
	v_cmpx_ge_f32_e32 0x40bc7edd, v2
	s_xor_b32 s0, exec_lo, s0
	s_cbranch_execz .LBB1_56
; %bb.55:
	v_mov_b32_e32 v2, 0x87
	global_store_b8 v[0:1], v2, off
                                        ; implicit-def: $vgpr0_vgpr1
.LBB1_56:
	s_wait_xcnt 0x0
	s_and_not1_saveexec_b32 s0, s0
	s_cbranch_execz .LBB1_58
; %bb.57:
	v_mov_b32_e32 v2, 0
	global_store_b8 v[0:1], v2, off
.LBB1_58:
	s_endpgm
	.section	.rodata,"a",@progbits
	.p2align	6, 0x0
	.amdhsa_kernel _Z12sobel_kernelPKhPhS1_ii
		.amdhsa_group_segment_fixed_size 0
		.amdhsa_private_segment_fixed_size 0
		.amdhsa_kernarg_size 288
		.amdhsa_user_sgpr_count 2
		.amdhsa_user_sgpr_dispatch_ptr 0
		.amdhsa_user_sgpr_queue_ptr 0
		.amdhsa_user_sgpr_kernarg_segment_ptr 1
		.amdhsa_user_sgpr_dispatch_id 0
		.amdhsa_user_sgpr_kernarg_preload_length 0
		.amdhsa_user_sgpr_kernarg_preload_offset 0
		.amdhsa_user_sgpr_private_segment_size 0
		.amdhsa_wavefront_size32 1
		.amdhsa_uses_dynamic_stack 0
		.amdhsa_enable_private_segment 0
		.amdhsa_system_sgpr_workgroup_id_x 1
		.amdhsa_system_sgpr_workgroup_id_y 1
		.amdhsa_system_sgpr_workgroup_id_z 0
		.amdhsa_system_sgpr_workgroup_info 0
		.amdhsa_system_vgpr_workitem_id 1
		.amdhsa_next_free_vgpr 18
		.amdhsa_next_free_sgpr 26
		.amdhsa_named_barrier_count 0
		.amdhsa_reserve_vcc 1
		.amdhsa_float_round_mode_32 0
		.amdhsa_float_round_mode_16_64 0
		.amdhsa_float_denorm_mode_32 3
		.amdhsa_float_denorm_mode_16_64 3
		.amdhsa_fp16_overflow 0
		.amdhsa_memory_ordered 1
		.amdhsa_forward_progress 1
		.amdhsa_inst_pref_size 20
		.amdhsa_round_robin_scheduling 0
		.amdhsa_exception_fp_ieee_invalid_op 0
		.amdhsa_exception_fp_denorm_src 0
		.amdhsa_exception_fp_ieee_div_zero 0
		.amdhsa_exception_fp_ieee_overflow 0
		.amdhsa_exception_fp_ieee_underflow 0
		.amdhsa_exception_fp_ieee_inexact 0
		.amdhsa_exception_int_div_zero 0
	.end_amdhsa_kernel
	.text
.Lfunc_end1:
	.size	_Z12sobel_kernelPKhPhS1_ii, .Lfunc_end1-_Z12sobel_kernelPKhPhS1_ii
                                        ; -- End function
	.set _Z12sobel_kernelPKhPhS1_ii.num_vgpr, 18
	.set _Z12sobel_kernelPKhPhS1_ii.num_agpr, 0
	.set _Z12sobel_kernelPKhPhS1_ii.numbered_sgpr, 26
	.set _Z12sobel_kernelPKhPhS1_ii.num_named_barrier, 0
	.set _Z12sobel_kernelPKhPhS1_ii.private_seg_size, 0
	.set _Z12sobel_kernelPKhPhS1_ii.uses_vcc, 1
	.set _Z12sobel_kernelPKhPhS1_ii.uses_flat_scratch, 0
	.set _Z12sobel_kernelPKhPhS1_ii.has_dyn_sized_stack, 0
	.set _Z12sobel_kernelPKhPhS1_ii.has_recursion, 0
	.set _Z12sobel_kernelPKhPhS1_ii.has_indirect_call, 0
	.section	.AMDGPU.csdata,"",@progbits
; Kernel info:
; codeLenInByte = 2512
; TotalNumSgprs: 28
; NumVgprs: 18
; ScratchSize: 0
; MemoryBound: 0
; FloatMode: 240
; IeeeMode: 1
; LDSByteSize: 0 bytes/workgroup (compile time only)
; SGPRBlocks: 0
; VGPRBlocks: 1
; NumSGPRsForWavesPerEU: 28
; NumVGPRsForWavesPerEU: 18
; NamedBarCnt: 0
; Occupancy: 16
; WaveLimiterHint : 0
; COMPUTE_PGM_RSRC2:SCRATCH_EN: 0
; COMPUTE_PGM_RSRC2:USER_SGPR: 2
; COMPUTE_PGM_RSRC2:TRAP_HANDLER: 0
; COMPUTE_PGM_RSRC2:TGID_X_EN: 1
; COMPUTE_PGM_RSRC2:TGID_Y_EN: 1
; COMPUTE_PGM_RSRC2:TGID_Z_EN: 0
; COMPUTE_PGM_RSRC2:TIDIG_COMP_CNT: 1
	.text
	.protected	_Z19non_max_supp_kernelPKhPhS0_ii ; -- Begin function _Z19non_max_supp_kernelPKhPhS0_ii
	.globl	_Z19non_max_supp_kernelPKhPhS0_ii
	.p2align	8
	.type	_Z19non_max_supp_kernelPKhPhS0_ii,@function
_Z19non_max_supp_kernelPKhPhS0_ii:      ; @_Z19non_max_supp_kernelPKhPhS0_ii
; %bb.0:
	s_clause 0x1
	s_load_b32 s3, s[0:1], 0x2c
	s_load_b32 s2, s[0:1], 0x1c
	s_bfe_u32 s5, ttmp6, 0x4000c
	s_bfe_u32 s6, ttmp6, 0x40010
	v_bfe_u32 v8, v0, 10, 10
	v_and_b32_e32 v6, 0x3ff, v0
	s_add_co_i32 s5, s5, 1
	s_add_co_i32 s6, s6, 1
	s_and_b32 s4, ttmp6, 15
	s_bfe_u32 s7, ttmp6, 0x40004
	s_mul_i32 s5, ttmp9, s5
	s_mul_i32 s6, ttmp7, s6
	s_getreg_b32 s8, hwreg(HW_REG_IB_STS2, 6, 4)
	s_add_co_i32 s4, s4, s5
	s_add_co_i32 s7, s7, s6
	v_dual_add_nc_u32 v4, 1, v8 :: v_dual_add_nc_u32 v7, 1, v6
	s_wait_kmcnt 0x0
	s_lshr_b32 s5, s3, 16
	s_and_b32 s6, s3, 0xffff
	s_cmp_eq_u32 s8, 0
	s_cselect_b32 s3, ttmp9, s4
	s_cselect_b32 s4, ttmp7, s7
	v_mad_u32 v0, s3, s6, v7
	v_mad_u32 v1, s4, s5, v4
	s_load_b64 s[4:5], s[0:1], 0x0
	s_add_co_i32 s8, s6, 2
	s_mov_b32 s3, exec_lo
	v_mul_u32_u24_e32 v2, s8, v4
	s_delay_alu instid0(VALU_DEP_1) | instskip(NEXT) | instid1(VALU_DEP_3)
	v_lshl_add_u32 v9, v2, 2, 0
	v_mad_u32 v0, v1, s2, v0
	s_delay_alu instid0(VALU_DEP_2) | instskip(SKIP_3) | instid1(VALU_DEP_1)
	v_lshl_add_u32 v10, v7, 2, v9
	s_wait_kmcnt 0x0
	global_load_u8 v5, v0, s[4:5]
	v_ashrrev_i32_e32 v1, 31, v0
	v_add_nc_u64_e32 v[2:3], s[4:5], v[0:1]
	s_wait_loadcnt 0x0
	ds_store_b32 v10, v5
	v_cmpx_ne_u32_e32 0, v8
	s_xor_b32 s7, exec_lo, s3
	s_cbranch_execz .LBB2_9
; %bb.1:
	s_mov_b32 s9, exec_lo
	v_cmpx_eq_u32_e64 s6, v4
	s_cbranch_execz .LBB2_8
; %bb.2:
	s_ashr_i32 s3, s2, 31
	s_mov_b32 s10, exec_lo
	v_add_nc_u64_e32 v[4:5], s[2:3], v[2:3]
	s_add_co_i32 s3, s6, 1
	s_delay_alu instid0(SALU_CYCLE_1) | instskip(NEXT) | instid1(SALU_CYCLE_1)
	s_mul_i32 s3, s3, s8
	s_lshl_b32 s3, s3, 2
	s_delay_alu instid0(SALU_CYCLE_1)
	s_add_co_i32 s3, s3, 0
	global_load_u8 v12, v[4:5], off
	v_lshl_add_u32 v11, v7, 2, s3
	s_wait_loadcnt 0x0
	ds_store_b32 v11, v12
	v_cmpx_ne_u32_e32 0, v6
	s_xor_b32 s10, exec_lo, s10
	s_cbranch_execz .LBB2_6
; %bb.3:
	s_mov_b32 s11, exec_lo
	v_cmpx_eq_u32_e64 s6, v7
	s_cbranch_execz .LBB2_5
; %bb.4:
	global_load_u8 v4, v[4:5], off offset:1
	s_wait_loadcnt 0x0
	ds_store_b32 v11, v4 offset:4
.LBB2_5:
	s_or_b32 exec_lo, exec_lo, s11
                                        ; implicit-def: $vgpr4_vgpr5
.LBB2_6:
	s_and_not1_saveexec_b32 s10, s10
	s_cbranch_execz .LBB2_8
; %bb.7:
	global_load_u8 v4, v[4:5], off offset:-1
	s_wait_xcnt 0x0
	v_mov_b32_e32 v5, s3
	s_wait_loadcnt 0x0
	ds_store_b32 v5, v4
.LBB2_8:
	s_or_b32 exec_lo, exec_lo, s9
.LBB2_9:
	s_and_not1_saveexec_b32 s3, s7
	s_cbranch_execz .LBB2_17
; %bb.10:
	v_subrev_nc_u32_e32 v4, s2, v0
	v_lshl_add_u32 v11, v7, 2, 0
	s_mov_b32 s2, exec_lo
	global_load_u8 v12, v4, s[4:5]
	v_ashrrev_i32_e32 v5, 31, v4
	s_wait_xcnt 0x0
	s_delay_alu instid0(VALU_DEP_1)
	v_add_nc_u64_e32 v[4:5], s[4:5], v[4:5]
	s_wait_loadcnt 0x0
	ds_store_b32 v11, v12
	v_cmpx_ne_u32_e32 0, v6
	s_xor_b32 s2, exec_lo, s2
	s_cbranch_execz .LBB2_14
; %bb.11:
	s_mov_b32 s4, exec_lo
	v_cmpx_eq_u32_e64 s6, v7
	s_cbranch_execz .LBB2_13
; %bb.12:
	global_load_u8 v4, v[4:5], off offset:1
	s_wait_loadcnt 0x0
	ds_store_b32 v11, v4 offset:4
.LBB2_13:
	s_or_b32 exec_lo, exec_lo, s4
                                        ; implicit-def: $vgpr4_vgpr5
.LBB2_14:
	s_and_not1_saveexec_b32 s2, s2
	s_cbranch_execz .LBB2_16
; %bb.15:
	global_load_u8 v4, v[4:5], off offset:-1
	s_wait_xcnt 0x0
	v_mov_b32_e32 v5, 0
	s_wait_loadcnt 0x0
	ds_store_b32 v5, v4
.LBB2_16:
	s_or_b32 exec_lo, exec_lo, s2
.LBB2_17:
	s_delay_alu instid0(SALU_CYCLE_1) | instskip(NEXT) | instid1(SALU_CYCLE_1)
	s_or_b32 exec_lo, exec_lo, s3
	s_mov_b32 s2, exec_lo
	v_cmpx_ne_u32_e32 0, v6
	s_xor_b32 s2, exec_lo, s2
	s_cbranch_execz .LBB2_21
; %bb.18:
	s_mov_b32 s3, exec_lo
	v_cmpx_eq_u32_e64 s6, v7
	s_cbranch_execz .LBB2_20
; %bb.19:
	global_load_u8 v2, v[2:3], off offset:1
	s_wait_loadcnt 0x0
	ds_store_b32 v10, v2 offset:4
.LBB2_20:
	s_or_b32 exec_lo, exec_lo, s3
                                        ; implicit-def: $vgpr2_vgpr3
.LBB2_21:
	s_and_not1_saveexec_b32 s2, s2
	s_cbranch_execz .LBB2_23
; %bb.22:
	global_load_u8 v2, v[2:3], off offset:-1
	s_wait_loadcnt 0x0
	ds_store_b32 v9, v2
.LBB2_23:
	s_or_b32 exec_lo, exec_lo, s2
	s_load_b128 s[4:7], s[0:1], 0x8
	s_wait_dscnt 0x0
	s_barrier_signal -1
	s_barrier_wait -1
	s_wait_xcnt 0x0
	s_mov_b32 s0, exec_lo
	s_wait_kmcnt 0x0
	v_add_nc_u64_e32 v[2:3], s[6:7], v[0:1]
	global_load_u8 v3, v[2:3], off
	s_wait_xcnt 0x0
	ds_load_b32 v2, v10
	s_wait_dscnt 0x0
	v_and_b32_e32 v2, 0xff, v2
	s_wait_loadcnt 0x0
	v_cmpx_lt_i16_e32 0x59, v3
	s_xor_b32 s0, exec_lo, s0
	s_cbranch_execnz .LBB2_26
; %bb.24:
	s_and_not1_saveexec_b32 s0, s0
	s_cbranch_execnz .LBB2_39
.LBB2_25:
	s_or_b32 exec_lo, exec_lo, s0
	v_add_nc_u64_e32 v[0:1], s[4:5], v[0:1]
	global_store_b8 v[0:1], v2, off
	s_endpgm
.LBB2_26:
	s_mov_b32 s1, exec_lo
	v_cmpx_lt_i16_e32 0x86, v3
	s_xor_b32 s1, exec_lo, s1
	s_cbranch_execz .LBB2_32
; %bb.27:
	s_mov_b32 s2, exec_lo
	v_cmpx_eq_u16_e32 0x87, v3
	s_cbranch_execz .LBB2_31
; %bb.28:
	v_mul_u32_u24_e32 v3, s8, v8
	s_delay_alu instid0(VALU_DEP_1) | instskip(NEXT) | instid1(VALU_DEP_1)
	v_lshl_add_u32 v3, v3, 2, 0
	v_lshl_add_u32 v4, v6, 2, v3
	ds_load_b32 v4, v4
	s_wait_dscnt 0x0
	v_cmp_gt_i32_e32 vcc_lo, v2, v4
	v_mov_b32_e32 v4, 0
	s_and_saveexec_b32 s3, vcc_lo
	s_cbranch_execz .LBB2_30
; %bb.29:
	v_lshlrev_b32_e32 v4, 2, v7
	s_lshl_b32 s6, s8, 3
	s_delay_alu instid0(VALU_DEP_1) | instid1(SALU_CYCLE_1)
	v_add3_u32 v3, v3, s6, v4
	ds_load_b32 v3, v3 offset:4
	s_wait_dscnt 0x0
	v_cmp_gt_i32_e32 vcc_lo, v2, v3
	v_cndmask_b32_e32 v4, 0, v2, vcc_lo
.LBB2_30:
	s_or_b32 exec_lo, exec_lo, s3
	s_delay_alu instid0(VALU_DEP_1)
	v_mov_b32_e32 v2, v4
.LBB2_31:
	s_or_b32 exec_lo, exec_lo, s2
                                        ; implicit-def: $vgpr3
                                        ; implicit-def: $vgpr8
                                        ; implicit-def: $vgpr7
.LBB2_32:
	s_and_not1_saveexec_b32 s1, s1
	s_cbranch_execz .LBB2_38
; %bb.33:
	s_mov_b32 s2, exec_lo
	v_cmpx_eq_u16_e32 0x5a, v3
	s_cbranch_execz .LBB2_37
; %bb.34:
	v_mul_u32_u24_e32 v3, s8, v8
	s_delay_alu instid0(VALU_DEP_1) | instskip(NEXT) | instid1(VALU_DEP_1)
	v_lshl_add_u32 v3, v3, 2, 0
	v_lshl_add_u32 v4, v7, 2, v3
	ds_load_b32 v4, v4
	s_wait_dscnt 0x0
	v_cmp_gt_i32_e32 vcc_lo, v2, v4
	v_mov_b32_e32 v4, 0
	s_and_saveexec_b32 s3, vcc_lo
	s_cbranch_execz .LBB2_36
; %bb.35:
	v_lshlrev_b32_e32 v4, 2, v7
	s_lshl_b32 s6, s8, 3
	s_delay_alu instid0(VALU_DEP_1) | instid1(SALU_CYCLE_1)
	v_add3_u32 v3, v3, s6, v4
	ds_load_b32 v3, v3
	s_wait_dscnt 0x0
	v_cmp_gt_i32_e32 vcc_lo, v2, v3
	v_cndmask_b32_e32 v4, 0, v2, vcc_lo
.LBB2_36:
	s_or_b32 exec_lo, exec_lo, s3
	s_delay_alu instid0(VALU_DEP_1)
	v_mov_b32_e32 v2, v4
.LBB2_37:
	s_or_b32 exec_lo, exec_lo, s2
.LBB2_38:
	s_delay_alu instid0(SALU_CYCLE_1)
	s_or_b32 exec_lo, exec_lo, s1
                                        ; implicit-def: $vgpr3
                                        ; implicit-def: $vgpr10
                                        ; implicit-def: $vgpr6
                                        ; implicit-def: $vgpr9
                                        ; implicit-def: $vgpr8
                                        ; implicit-def: $vgpr7
	s_and_not1_saveexec_b32 s0, s0
	s_cbranch_execz .LBB2_25
.LBB2_39:
	s_mov_b32 s1, exec_lo
	v_cmpx_lt_i16_e32 44, v3
	s_xor_b32 s1, exec_lo, s1
	s_cbranch_execz .LBB2_45
; %bb.40:
	s_mov_b32 s2, exec_lo
	v_cmpx_eq_u16_e32 45, v3
	s_cbranch_execz .LBB2_44
; %bb.41:
	v_mul_u32_u24_e32 v3, s8, v8
	s_delay_alu instid0(VALU_DEP_1) | instskip(NEXT) | instid1(VALU_DEP_1)
	v_lshl_add_u32 v3, v3, 2, 0
	v_lshl_add_u32 v4, v7, 2, v3
	ds_load_b32 v4, v4 offset:4
	s_wait_dscnt 0x0
	v_cmp_gt_i32_e32 vcc_lo, v2, v4
	v_mov_b32_e32 v4, 0
	s_and_saveexec_b32 s3, vcc_lo
	s_cbranch_execz .LBB2_43
; %bb.42:
	v_lshlrev_b32_e32 v4, 2, v6
	s_lshl_b32 s6, s8, 3
	s_delay_alu instid0(VALU_DEP_1) | instid1(SALU_CYCLE_1)
	v_add3_u32 v3, v3, s6, v4
	ds_load_b32 v3, v3
	s_wait_dscnt 0x0
	v_cmp_gt_i32_e32 vcc_lo, v2, v3
	v_cndmask_b32_e32 v4, 0, v2, vcc_lo
.LBB2_43:
	s_or_b32 exec_lo, exec_lo, s3
	s_delay_alu instid0(VALU_DEP_1)
	v_mov_b32_e32 v2, v4
.LBB2_44:
	s_or_b32 exec_lo, exec_lo, s2
                                        ; implicit-def: $vgpr3
                                        ; implicit-def: $vgpr10
                                        ; implicit-def: $vgpr6
                                        ; implicit-def: $vgpr9
.LBB2_45:
	s_and_not1_saveexec_b32 s1, s1
	s_cbranch_execz .LBB2_51
; %bb.46:
	s_mov_b32 s2, exec_lo
	v_cmpx_eq_u16_e32 0, v3
	s_cbranch_execz .LBB2_50
; %bb.47:
	ds_load_b32 v3, v10 offset:4
	s_wait_dscnt 0x0
	v_cmp_gt_i32_e32 vcc_lo, v2, v3
	v_mov_b32_e32 v3, 0
	s_and_saveexec_b32 s3, vcc_lo
	s_cbranch_execz .LBB2_49
; %bb.48:
	v_lshl_add_u32 v3, v6, 2, v9
	ds_load_b32 v3, v3
	s_wait_dscnt 0x0
	v_cmp_gt_i32_e32 vcc_lo, v2, v3
	v_cndmask_b32_e32 v3, 0, v2, vcc_lo
.LBB2_49:
	s_or_b32 exec_lo, exec_lo, s3
	s_delay_alu instid0(VALU_DEP_1)
	v_mov_b32_e32 v2, v3
.LBB2_50:
	s_or_b32 exec_lo, exec_lo, s2
.LBB2_51:
	s_delay_alu instid0(SALU_CYCLE_1) | instskip(NEXT) | instid1(SALU_CYCLE_1)
	s_or_b32 exec_lo, exec_lo, s1
	s_or_b32 exec_lo, exec_lo, s0
	v_add_nc_u64_e32 v[0:1], s[4:5], v[0:1]
	global_store_b8 v[0:1], v2, off
	s_endpgm
	.section	.rodata,"a",@progbits
	.p2align	6, 0x0
	.amdhsa_kernel _Z19non_max_supp_kernelPKhPhS0_ii
		.amdhsa_group_segment_fixed_size 0
		.amdhsa_private_segment_fixed_size 0
		.amdhsa_kernarg_size 288
		.amdhsa_user_sgpr_count 2
		.amdhsa_user_sgpr_dispatch_ptr 0
		.amdhsa_user_sgpr_queue_ptr 0
		.amdhsa_user_sgpr_kernarg_segment_ptr 1
		.amdhsa_user_sgpr_dispatch_id 0
		.amdhsa_user_sgpr_kernarg_preload_length 0
		.amdhsa_user_sgpr_kernarg_preload_offset 0
		.amdhsa_user_sgpr_private_segment_size 0
		.amdhsa_wavefront_size32 1
		.amdhsa_uses_dynamic_stack 0
		.amdhsa_enable_private_segment 0
		.amdhsa_system_sgpr_workgroup_id_x 1
		.amdhsa_system_sgpr_workgroup_id_y 1
		.amdhsa_system_sgpr_workgroup_id_z 0
		.amdhsa_system_sgpr_workgroup_info 0
		.amdhsa_system_vgpr_workitem_id 1
		.amdhsa_next_free_vgpr 13
		.amdhsa_next_free_sgpr 12
		.amdhsa_named_barrier_count 0
		.amdhsa_reserve_vcc 1
		.amdhsa_float_round_mode_32 0
		.amdhsa_float_round_mode_16_64 0
		.amdhsa_float_denorm_mode_32 3
		.amdhsa_float_denorm_mode_16_64 3
		.amdhsa_fp16_overflow 0
		.amdhsa_memory_ordered 1
		.amdhsa_forward_progress 1
		.amdhsa_inst_pref_size 11
		.amdhsa_round_robin_scheduling 0
		.amdhsa_exception_fp_ieee_invalid_op 0
		.amdhsa_exception_fp_denorm_src 0
		.amdhsa_exception_fp_ieee_div_zero 0
		.amdhsa_exception_fp_ieee_overflow 0
		.amdhsa_exception_fp_ieee_underflow 0
		.amdhsa_exception_fp_ieee_inexact 0
		.amdhsa_exception_int_div_zero 0
	.end_amdhsa_kernel
	.text
.Lfunc_end2:
	.size	_Z19non_max_supp_kernelPKhPhS0_ii, .Lfunc_end2-_Z19non_max_supp_kernelPKhPhS0_ii
                                        ; -- End function
	.set _Z19non_max_supp_kernelPKhPhS0_ii.num_vgpr, 13
	.set _Z19non_max_supp_kernelPKhPhS0_ii.num_agpr, 0
	.set _Z19non_max_supp_kernelPKhPhS0_ii.numbered_sgpr, 12
	.set _Z19non_max_supp_kernelPKhPhS0_ii.num_named_barrier, 0
	.set _Z19non_max_supp_kernelPKhPhS0_ii.private_seg_size, 0
	.set _Z19non_max_supp_kernelPKhPhS0_ii.uses_vcc, 1
	.set _Z19non_max_supp_kernelPKhPhS0_ii.uses_flat_scratch, 0
	.set _Z19non_max_supp_kernelPKhPhS0_ii.has_dyn_sized_stack, 0
	.set _Z19non_max_supp_kernelPKhPhS0_ii.has_recursion, 0
	.set _Z19non_max_supp_kernelPKhPhS0_ii.has_indirect_call, 0
	.section	.AMDGPU.csdata,"",@progbits
; Kernel info:
; codeLenInByte = 1376
; TotalNumSgprs: 14
; NumVgprs: 13
; ScratchSize: 0
; MemoryBound: 0
; FloatMode: 240
; IeeeMode: 1
; LDSByteSize: 0 bytes/workgroup (compile time only)
; SGPRBlocks: 0
; VGPRBlocks: 0
; NumSGPRsForWavesPerEU: 14
; NumVGPRsForWavesPerEU: 13
; NamedBarCnt: 0
; Occupancy: 16
; WaveLimiterHint : 0
; COMPUTE_PGM_RSRC2:SCRATCH_EN: 0
; COMPUTE_PGM_RSRC2:USER_SGPR: 2
; COMPUTE_PGM_RSRC2:TRAP_HANDLER: 0
; COMPUTE_PGM_RSRC2:TGID_X_EN: 1
; COMPUTE_PGM_RSRC2:TGID_Y_EN: 1
; COMPUTE_PGM_RSRC2:TGID_Z_EN: 0
; COMPUTE_PGM_RSRC2:TIDIG_COMP_CNT: 1
	.text
	.protected	_Z11hyst_kernelPKhPhii  ; -- Begin function _Z11hyst_kernelPKhPhii
	.globl	_Z11hyst_kernelPKhPhii
	.p2align	8
	.type	_Z11hyst_kernelPKhPhii,@function
_Z11hyst_kernelPKhPhii:                 ; @_Z11hyst_kernelPKhPhii
; %bb.0:
	s_clause 0x1
	s_load_b32 s2, s[0:1], 0x24
	s_load_b32 s4, s[0:1], 0x14
	s_bfe_u32 s5, ttmp6, 0x4000c
	s_bfe_u32 s6, ttmp6, 0x40010
	s_add_co_i32 s5, s5, 1
	s_add_co_i32 s6, s6, 1
	s_and_b32 s3, ttmp6, 15
	s_bfe_u32 s7, ttmp6, 0x40004
	s_mul_i32 s5, ttmp9, s5
	s_mul_i32 s6, ttmp7, s6
	s_getreg_b32 s8, hwreg(HW_REG_IB_STS2, 6, 4)
	s_add_co_i32 s5, s3, s5
	s_add_co_i32 s7, s7, s6
	v_bfe_u32 v1, v0, 10, 10
	v_and_b32_e32 v0, 0x3ff, v0
	s_wait_kmcnt 0x0
	s_lshr_b32 s3, s2, 16
	s_and_b32 s6, s2, 0xffff
	s_cmp_eq_u32 s8, 0
	s_cselect_b32 s2, ttmp7, s7
	s_cselect_b32 s5, ttmp9, s5
	v_mad_u32 v1, s2, s3, v1
	s_load_b128 s[0:3], s[0:1], 0x0
	v_mad_u32 v0, s5, s6, v0
	s_delay_alu instid0(VALU_DEP_2) | instskip(NEXT) | instid1(VALU_DEP_1)
	v_mad_u32 v1, s4, v1, s4
	v_add3_u32 v0, v0, v1, 1
	s_wait_kmcnt 0x0
	global_load_u8 v2, v0, s[0:1]
	v_ashrrev_i32_e32 v1, 31, v0
	s_wait_xcnt 0x0
	s_mov_b32 s0, exec_lo
	s_wait_loadcnt 0x0
	v_cmpx_gt_u16_e32 0x46, v2
	s_xor_b32 s0, exec_lo, s0
	s_cbranch_execnz .LBB3_3
; %bb.1:
	s_and_not1_saveexec_b32 s0, s0
	s_cbranch_execnz .LBB3_12
.LBB3_2:
	s_endpgm
.LBB3_3:
	s_mov_b32 s1, exec_lo
	v_cmpx_lt_u16_e32 10, v2
	s_xor_b32 s1, exec_lo, s1
	s_cbranch_execz .LBB3_9
; %bb.4:
	v_add_nc_u64_e32 v[0:1], s[2:3], v[0:1]
	s_mov_b32 s4, exec_lo
	v_cmpx_gt_u16_e32 40, v2
	s_xor_b32 s4, exec_lo, s4
	s_cbranch_execz .LBB3_6
; %bb.5:
	v_mov_b32_e32 v2, 0
	global_store_b8 v[0:1], v2, off
                                        ; implicit-def: $vgpr0_vgpr1
.LBB3_6:
	s_wait_xcnt 0x0
	s_and_not1_saveexec_b32 s4, s4
	s_cbranch_execz .LBB3_8
; %bb.7:
	v_mov_b32_e32 v2, 0xff
	global_store_b8 v[0:1], v2, off
.LBB3_8:
	s_wait_xcnt 0x0
	s_or_b32 exec_lo, exec_lo, s4
                                        ; implicit-def: $vgpr0_vgpr1
.LBB3_9:
	s_and_not1_saveexec_b32 s1, s1
	s_cbranch_execz .LBB3_11
; %bb.10:
	v_add_nc_u64_e32 v[0:1], s[2:3], v[0:1]
	v_mov_b32_e32 v2, 0
	global_store_b8 v[0:1], v2, off
.LBB3_11:
	s_wait_xcnt 0x0
	s_or_b32 exec_lo, exec_lo, s1
                                        ; implicit-def: $vgpr0_vgpr1
	s_and_not1_saveexec_b32 s0, s0
	s_cbranch_execz .LBB3_2
.LBB3_12:
	v_add_nc_u64_e32 v[0:1], s[2:3], v[0:1]
	v_mov_b32_e32 v2, 0xff
	global_store_b8 v[0:1], v2, off
	s_endpgm
	.section	.rodata,"a",@progbits
	.p2align	6, 0x0
	.amdhsa_kernel _Z11hyst_kernelPKhPhii
		.amdhsa_group_segment_fixed_size 0
		.amdhsa_private_segment_fixed_size 0
		.amdhsa_kernarg_size 280
		.amdhsa_user_sgpr_count 2
		.amdhsa_user_sgpr_dispatch_ptr 0
		.amdhsa_user_sgpr_queue_ptr 0
		.amdhsa_user_sgpr_kernarg_segment_ptr 1
		.amdhsa_user_sgpr_dispatch_id 0
		.amdhsa_user_sgpr_kernarg_preload_length 0
		.amdhsa_user_sgpr_kernarg_preload_offset 0
		.amdhsa_user_sgpr_private_segment_size 0
		.amdhsa_wavefront_size32 1
		.amdhsa_uses_dynamic_stack 0
		.amdhsa_enable_private_segment 0
		.amdhsa_system_sgpr_workgroup_id_x 1
		.amdhsa_system_sgpr_workgroup_id_y 1
		.amdhsa_system_sgpr_workgroup_id_z 0
		.amdhsa_system_sgpr_workgroup_info 0
		.amdhsa_system_vgpr_workitem_id 1
		.amdhsa_next_free_vgpr 3
		.amdhsa_next_free_sgpr 9
		.amdhsa_named_barrier_count 0
		.amdhsa_reserve_vcc 0
		.amdhsa_float_round_mode_32 0
		.amdhsa_float_round_mode_16_64 0
		.amdhsa_float_denorm_mode_32 3
		.amdhsa_float_denorm_mode_16_64 3
		.amdhsa_fp16_overflow 0
		.amdhsa_memory_ordered 1
		.amdhsa_forward_progress 1
		.amdhsa_inst_pref_size 4
		.amdhsa_round_robin_scheduling 0
		.amdhsa_exception_fp_ieee_invalid_op 0
		.amdhsa_exception_fp_denorm_src 0
		.amdhsa_exception_fp_ieee_div_zero 0
		.amdhsa_exception_fp_ieee_overflow 0
		.amdhsa_exception_fp_ieee_underflow 0
		.amdhsa_exception_fp_ieee_inexact 0
		.amdhsa_exception_int_div_zero 0
	.end_amdhsa_kernel
	.text
.Lfunc_end3:
	.size	_Z11hyst_kernelPKhPhii, .Lfunc_end3-_Z11hyst_kernelPKhPhii
                                        ; -- End function
	.set _Z11hyst_kernelPKhPhii.num_vgpr, 3
	.set _Z11hyst_kernelPKhPhii.num_agpr, 0
	.set _Z11hyst_kernelPKhPhii.numbered_sgpr, 9
	.set _Z11hyst_kernelPKhPhii.num_named_barrier, 0
	.set _Z11hyst_kernelPKhPhii.private_seg_size, 0
	.set _Z11hyst_kernelPKhPhii.uses_vcc, 0
	.set _Z11hyst_kernelPKhPhii.uses_flat_scratch, 0
	.set _Z11hyst_kernelPKhPhii.has_dyn_sized_stack, 0
	.set _Z11hyst_kernelPKhPhii.has_recursion, 0
	.set _Z11hyst_kernelPKhPhii.has_indirect_call, 0
	.section	.AMDGPU.csdata,"",@progbits
; Kernel info:
; codeLenInByte = 388
; TotalNumSgprs: 9
; NumVgprs: 3
; ScratchSize: 0
; MemoryBound: 0
; FloatMode: 240
; IeeeMode: 1
; LDSByteSize: 0 bytes/workgroup (compile time only)
; SGPRBlocks: 0
; VGPRBlocks: 0
; NumSGPRsForWavesPerEU: 9
; NumVGPRsForWavesPerEU: 3
; NamedBarCnt: 0
; Occupancy: 16
; WaveLimiterHint : 0
; COMPUTE_PGM_RSRC2:SCRATCH_EN: 0
; COMPUTE_PGM_RSRC2:USER_SGPR: 2
; COMPUTE_PGM_RSRC2:TRAP_HANDLER: 0
; COMPUTE_PGM_RSRC2:TGID_X_EN: 1
; COMPUTE_PGM_RSRC2:TGID_Y_EN: 1
; COMPUTE_PGM_RSRC2:TGID_Z_EN: 0
; COMPUTE_PGM_RSRC2:TIDIG_COMP_CNT: 1
	.text
	.p2alignl 7, 3214868480
	.fill 96, 4, 3214868480
	.section	.AMDGPU.gpr_maximums,"",@progbits
	.set amdgpu.max_num_vgpr, 0
	.set amdgpu.max_num_agpr, 0
	.set amdgpu.max_num_sgpr, 0
	.text
	.protected	c_gaus                  ; @c_gaus
	.type	c_gaus,@object
	.section	.rodata,"a",@progbits
	.globl	c_gaus
	.p2align	4, 0x0
c_gaus:
	.long	0x3d800000                      ; float 0.0625
	.long	0x3e000000                      ; float 0.125
	;; [unrolled: 1-line block ×9, first 2 shown]
	.size	c_gaus, 36

	.protected	c_sobx                  ; @c_sobx
	.type	c_sobx,@object
	.globl	c_sobx
	.p2align	4, 0x0
c_sobx:
	.long	4294967295                      ; 0xffffffff
	.long	0                               ; 0x0
	.long	1                               ; 0x1
	.long	4294967294                      ; 0xfffffffe
	.long	0                               ; 0x0
	.long	2                               ; 0x2
	;; [unrolled: 3-line block ×3, first 2 shown]
	.size	c_sobx, 36

	.protected	c_soby                  ; @c_soby
	.type	c_soby,@object
	.globl	c_soby
	.p2align	4, 0x0
c_soby:
	.long	4294967295                      ; 0xffffffff
	.long	4294967294                      ; 0xfffffffe
	;; [unrolled: 1-line block ×3, first 2 shown]
	.long	0                               ; 0x0
	.long	0                               ; 0x0
	;; [unrolled: 1-line block ×6, first 2 shown]
	.size	c_soby, 36

	.type	__hip_cuid_c0e48b4aa517042d,@object ; @__hip_cuid_c0e48b4aa517042d
	.section	.bss,"aw",@nobits
	.globl	__hip_cuid_c0e48b4aa517042d
__hip_cuid_c0e48b4aa517042d:
	.byte	0                               ; 0x0
	.size	__hip_cuid_c0e48b4aa517042d, 1

	.ident	"AMD clang version 22.0.0git (https://github.com/RadeonOpenCompute/llvm-project roc-7.2.4 26084 f58b06dce1f9c15707c5f808fd002e18c2accf7e)"
	.section	".note.GNU-stack","",@progbits
	.addrsig
	.addrsig_sym c_gaus
	.addrsig_sym c_sobx
	.addrsig_sym c_soby
	.addrsig_sym __hip_cuid_c0e48b4aa517042d
	.amdgpu_metadata
---
amdhsa.kernels:
  - .args:
      - .actual_access:  read_only
        .address_space:  global
        .offset:         0
        .size:           8
        .value_kind:     global_buffer
      - .actual_access:  write_only
        .address_space:  global
        .offset:         8
        .size:           8
        .value_kind:     global_buffer
      - .offset:         16
        .size:           4
        .value_kind:     by_value
      - .offset:         20
        .size:           4
        .value_kind:     by_value
      - .offset:         24
        .size:           4
        .value_kind:     hidden_block_count_x
      - .offset:         28
        .size:           4
        .value_kind:     hidden_block_count_y
      - .offset:         32
        .size:           4
        .value_kind:     hidden_block_count_z
      - .offset:         36
        .size:           2
        .value_kind:     hidden_group_size_x
      - .offset:         38
        .size:           2
        .value_kind:     hidden_group_size_y
      - .offset:         40
        .size:           2
        .value_kind:     hidden_group_size_z
      - .offset:         42
        .size:           2
        .value_kind:     hidden_remainder_x
      - .offset:         44
        .size:           2
        .value_kind:     hidden_remainder_y
      - .offset:         46
        .size:           2
        .value_kind:     hidden_remainder_z
      - .offset:         64
        .size:           8
        .value_kind:     hidden_global_offset_x
      - .offset:         72
        .size:           8
        .value_kind:     hidden_global_offset_y
      - .offset:         80
        .size:           8
        .value_kind:     hidden_global_offset_z
      - .offset:         88
        .size:           2
        .value_kind:     hidden_grid_dims
      - .offset:         144
        .size:           4
        .value_kind:     hidden_dynamic_lds_size
    .group_segment_fixed_size: 0
    .kernarg_segment_align: 8
    .kernarg_segment_size: 280
    .language:       OpenCL C
    .language_version:
      - 2
      - 0
    .max_flat_workgroup_size: 1024
    .name:           _Z15gaussian_kernelPKhPhii
    .private_segment_fixed_size: 0
    .sgpr_count:     14
    .sgpr_spill_count: 0
    .symbol:         _Z15gaussian_kernelPKhPhii.kd
    .uniform_work_group_size: 1
    .uses_dynamic_stack: false
    .vgpr_count:     13
    .vgpr_spill_count: 0
    .wavefront_size: 32
  - .args:
      - .actual_access:  read_only
        .address_space:  global
        .offset:         0
        .size:           8
        .value_kind:     global_buffer
      - .actual_access:  write_only
        .address_space:  global
        .offset:         8
        .size:           8
        .value_kind:     global_buffer
      - .actual_access:  write_only
        .address_space:  global
        .offset:         16
        .size:           8
        .value_kind:     global_buffer
      - .offset:         24
        .size:           4
        .value_kind:     by_value
      - .offset:         28
        .size:           4
        .value_kind:     by_value
      - .offset:         32
        .size:           4
        .value_kind:     hidden_block_count_x
      - .offset:         36
        .size:           4
        .value_kind:     hidden_block_count_y
      - .offset:         40
        .size:           4
        .value_kind:     hidden_block_count_z
      - .offset:         44
        .size:           2
        .value_kind:     hidden_group_size_x
      - .offset:         46
        .size:           2
        .value_kind:     hidden_group_size_y
      - .offset:         48
        .size:           2
        .value_kind:     hidden_group_size_z
      - .offset:         50
        .size:           2
        .value_kind:     hidden_remainder_x
      - .offset:         52
        .size:           2
        .value_kind:     hidden_remainder_y
      - .offset:         54
        .size:           2
        .value_kind:     hidden_remainder_z
      - .offset:         72
        .size:           8
        .value_kind:     hidden_global_offset_x
      - .offset:         80
        .size:           8
        .value_kind:     hidden_global_offset_y
      - .offset:         88
        .size:           8
        .value_kind:     hidden_global_offset_z
      - .offset:         96
        .size:           2
        .value_kind:     hidden_grid_dims
      - .offset:         152
        .size:           4
        .value_kind:     hidden_dynamic_lds_size
    .group_segment_fixed_size: 0
    .kernarg_segment_align: 8
    .kernarg_segment_size: 288
    .language:       OpenCL C
    .language_version:
      - 2
      - 0
    .max_flat_workgroup_size: 1024
    .name:           _Z12sobel_kernelPKhPhS1_ii
    .private_segment_fixed_size: 0
    .sgpr_count:     28
    .sgpr_spill_count: 0
    .symbol:         _Z12sobel_kernelPKhPhS1_ii.kd
    .uniform_work_group_size: 1
    .uses_dynamic_stack: false
    .vgpr_count:     18
    .vgpr_spill_count: 0
    .wavefront_size: 32
  - .args:
      - .actual_access:  read_only
        .address_space:  global
        .offset:         0
        .size:           8
        .value_kind:     global_buffer
      - .actual_access:  write_only
        .address_space:  global
        .offset:         8
        .size:           8
        .value_kind:     global_buffer
      - .actual_access:  read_only
        .address_space:  global
        .offset:         16
        .size:           8
        .value_kind:     global_buffer
      - .offset:         24
        .size:           4
        .value_kind:     by_value
      - .offset:         28
        .size:           4
        .value_kind:     by_value
      - .offset:         32
        .size:           4
        .value_kind:     hidden_block_count_x
      - .offset:         36
        .size:           4
        .value_kind:     hidden_block_count_y
      - .offset:         40
        .size:           4
        .value_kind:     hidden_block_count_z
      - .offset:         44
        .size:           2
        .value_kind:     hidden_group_size_x
      - .offset:         46
        .size:           2
        .value_kind:     hidden_group_size_y
      - .offset:         48
        .size:           2
        .value_kind:     hidden_group_size_z
      - .offset:         50
        .size:           2
        .value_kind:     hidden_remainder_x
      - .offset:         52
        .size:           2
        .value_kind:     hidden_remainder_y
      - .offset:         54
        .size:           2
        .value_kind:     hidden_remainder_z
      - .offset:         72
        .size:           8
        .value_kind:     hidden_global_offset_x
      - .offset:         80
        .size:           8
        .value_kind:     hidden_global_offset_y
      - .offset:         88
        .size:           8
        .value_kind:     hidden_global_offset_z
      - .offset:         96
        .size:           2
        .value_kind:     hidden_grid_dims
      - .offset:         152
        .size:           4
        .value_kind:     hidden_dynamic_lds_size
    .group_segment_fixed_size: 0
    .kernarg_segment_align: 8
    .kernarg_segment_size: 288
    .language:       OpenCL C
    .language_version:
      - 2
      - 0
    .max_flat_workgroup_size: 1024
    .name:           _Z19non_max_supp_kernelPKhPhS0_ii
    .private_segment_fixed_size: 0
    .sgpr_count:     14
    .sgpr_spill_count: 0
    .symbol:         _Z19non_max_supp_kernelPKhPhS0_ii.kd
    .uniform_work_group_size: 1
    .uses_dynamic_stack: false
    .vgpr_count:     13
    .vgpr_spill_count: 0
    .wavefront_size: 32
  - .args:
      - .actual_access:  read_only
        .address_space:  global
        .offset:         0
        .size:           8
        .value_kind:     global_buffer
      - .actual_access:  write_only
        .address_space:  global
        .offset:         8
        .size:           8
        .value_kind:     global_buffer
      - .offset:         16
        .size:           4
        .value_kind:     by_value
      - .offset:         20
        .size:           4
        .value_kind:     by_value
      - .offset:         24
        .size:           4
        .value_kind:     hidden_block_count_x
      - .offset:         28
        .size:           4
        .value_kind:     hidden_block_count_y
      - .offset:         32
        .size:           4
        .value_kind:     hidden_block_count_z
      - .offset:         36
        .size:           2
        .value_kind:     hidden_group_size_x
      - .offset:         38
        .size:           2
        .value_kind:     hidden_group_size_y
      - .offset:         40
        .size:           2
        .value_kind:     hidden_group_size_z
      - .offset:         42
        .size:           2
        .value_kind:     hidden_remainder_x
      - .offset:         44
        .size:           2
        .value_kind:     hidden_remainder_y
      - .offset:         46
        .size:           2
        .value_kind:     hidden_remainder_z
      - .offset:         64
        .size:           8
        .value_kind:     hidden_global_offset_x
      - .offset:         72
        .size:           8
        .value_kind:     hidden_global_offset_y
      - .offset:         80
        .size:           8
        .value_kind:     hidden_global_offset_z
      - .offset:         88
        .size:           2
        .value_kind:     hidden_grid_dims
    .group_segment_fixed_size: 0
    .kernarg_segment_align: 8
    .kernarg_segment_size: 280
    .language:       OpenCL C
    .language_version:
      - 2
      - 0
    .max_flat_workgroup_size: 1024
    .name:           _Z11hyst_kernelPKhPhii
    .private_segment_fixed_size: 0
    .sgpr_count:     9
    .sgpr_spill_count: 0
    .symbol:         _Z11hyst_kernelPKhPhii.kd
    .uniform_work_group_size: 1
    .uses_dynamic_stack: false
    .vgpr_count:     3
    .vgpr_spill_count: 0
    .wavefront_size: 32
amdhsa.target:   amdgcn-amd-amdhsa--gfx1250
amdhsa.version:
  - 1
  - 2
...

	.end_amdgpu_metadata
